;; amdgpu-corpus repo=zjin-lcf/HeCBench kind=compiled arch=gfx906 opt=O3
	.amdgcn_target "amdgcn-amd-amdhsa--gfx906"
	.amdhsa_code_object_version 6
	.text
	.protected	_Z7mr32_sfPKjS0_Pii     ; -- Begin function _Z7mr32_sfPKjS0_Pii
	.globl	_Z7mr32_sfPKjS0_Pii
	.p2align	8
	.type	_Z7mr32_sfPKjS0_Pii,@function
_Z7mr32_sfPKjS0_Pii:                    ; @_Z7mr32_sfPKjS0_Pii
; %bb.0:
	s_load_dword s0, s[4:5], 0x2c
	s_load_dword s1, s[4:5], 0x18
	s_waitcnt lgkmcnt(0)
	s_and_b32 s0, s0, 0xffff
	s_mul_i32 s6, s6, s0
	v_add_u32_e32 v0, s6, v0
	v_cmp_gt_i32_e32 vcc, s1, v0
	s_and_saveexec_b64 s[0:1], vcc
	s_cbranch_execz .LBB0_49
; %bb.1:
	s_load_dwordx4 s[8:11], s[4:5], 0x0
	s_load_dwordx2 s[6:7], s[4:5], 0x10
	v_ashrrev_i32_e32 v1, 31, v0
	v_lshlrev_b64 v[0:1], 2, v[0:1]
	s_mov_b32 s28, 1
	s_waitcnt lgkmcnt(0)
	v_mov_b32_e32 v2, s11
	v_add_co_u32_e32 v0, vcc, s10, v0
	v_addc_co_u32_e32 v1, vcc, v2, v1, vcc
	global_load_dword v8, v[0:1], off
	s_mov_b32 s11, 0
	v_mov_b32_e32 v11, 0x4f800000
	s_waitcnt vmcnt(0)
	v_cvt_f32_u32_e32 v0, v8
	v_add_u32_e32 v9, -1, v8
	v_and_b32_e32 v3, 1, v9
	v_cmp_eq_u32_e64 s[0:1], 0, v3
	v_rcp_iflag_f32_e32 v0, v0
	v_mul_f32_e32 v0, 0x4f7ffffe, v0
	v_cvt_u32_f32_e32 v1, v0
	v_sub_u32_e32 v0, 0, v8
	v_mul_lo_u32 v2, v0, v1
	v_mov_b32_e32 v0, 0
	v_mul_hi_u32 v2, v1, v2
	v_add_u32_e32 v10, v1, v2
	s_branch .LBB0_3
.LBB0_2:                                ;   in Loop: Header=BB0_3 Depth=1
	s_or_b64 exec, exec, s[2:3]
	s_add_i32 s28, s28, 1
	s_cmp_lg_u32 s28, 4
	s_cbranch_scc0 .LBB0_49
.LBB0_3:                                ; =>This Loop Header: Depth=1
                                        ;     Child Loop BB0_5 Depth 2
                                        ;     Child Loop BB0_9 Depth 2
                                        ;       Child Loop BB0_14 Depth 3
                                        ;       Child Loop BB0_29 Depth 3
                                        ;     Child Loop BB0_46 Depth 2
	v_mov_b32_e32 v13, v0
	v_mov_b32_e32 v12, v9
	s_and_saveexec_b64 s[2:3], s[0:1]
	s_cbranch_execz .LBB0_7
; %bb.4:                                ;   in Loop: Header=BB0_3 Depth=1
	s_mov_b32 s10, 0
	s_mov_b64 s[4:5], 0
	v_mov_b32_e32 v12, v9
.LBB0_5:                                ;   Parent Loop BB0_3 Depth=1
                                        ; =>  This Inner Loop Header: Depth=2
	v_mov_b32_e32 v1, v12
	v_lshrrev_b32_e32 v12, 1, v1
	v_and_b32_e32 v1, 2, v1
	s_add_i32 s10, s10, 1
	v_cmp_ne_u32_e32 vcc, 0, v1
	s_or_b64 s[4:5], vcc, s[4:5]
	v_mov_b32_e32 v13, s10
	s_andn2_b64 exec, exec, s[4:5]
	s_cbranch_execnz .LBB0_5
; %bb.6:                                ;   in Loop: Header=BB0_3 Depth=1
	s_or_b64 exec, exec, s[4:5]
.LBB0_7:                                ;   in Loop: Header=BB0_3 Depth=1
	s_or_b64 exec, exec, s[2:3]
	v_cmp_lt_u32_e64 s[2:3], 1, v13
	s_mov_b32 s10, 0
	s_mov_b64 s[12:13], 0
	s_branch .LBB0_9
.LBB0_8:                                ;   in Loop: Header=BB0_9 Depth=2
	s_or_b64 exec, exec, s[16:17]
	s_and_b64 s[4:5], exec, s[4:5]
	s_or_b64 s[12:13], s[4:5], s[12:13]
	s_andn2_b64 exec, exec, s[12:13]
	s_cbranch_execz .LBB0_45
.LBB0_9:                                ;   Parent Loop BB0_3 Depth=1
                                        ; =>  This Loop Header: Depth=2
                                        ;       Child Loop BB0_14 Depth 3
                                        ;       Child Loop BB0_29 Depth 3
	s_lshl_b64 s[4:5], s[10:11], 2
	s_add_u32 s4, s8, s4
	s_addc_u32 s5, s9, s5
	s_load_dword s14, s[4:5], 0x0
	s_waitcnt lgkmcnt(0)
	v_cmp_ge_u32_e32 vcc, s14, v8
	v_mov_b32_e32 v4, s14
	s_and_saveexec_b64 s[4:5], vcc
	s_cbranch_execz .LBB0_11
; %bb.10:                               ;   in Loop: Header=BB0_9 Depth=2
	v_mul_hi_u32 v1, s14, v10
	v_mul_lo_u32 v1, v1, v8
	v_sub_u32_e32 v1, s14, v1
	v_sub_u32_e32 v2, v1, v8
	v_cmp_ge_u32_e32 vcc, v1, v8
	v_cndmask_b32_e32 v1, v1, v2, vcc
	v_sub_u32_e32 v2, v1, v8
	v_cmp_ge_u32_e32 vcc, v1, v8
	v_cndmask_b32_e32 v4, v1, v2, vcc
.LBB0_11:                               ;   in Loop: Header=BB0_9 Depth=2
	s_or_b64 exec, exec, s[4:5]
	v_cmp_ne_u32_e32 vcc, 0, v4
	v_mov_b32_e32 v6, 6
	s_and_saveexec_b64 s[14:15], vcc
	s_cbranch_execz .LBB0_41
; %bb.12:                               ;   in Loop: Header=BB0_9 Depth=2
	v_mov_b32_e32 v2, 1
	v_mov_b32_e32 v5, v0
	;; [unrolled: 1-line block ×3, first 2 shown]
	s_mov_b64 s[16:17], 0
	v_mov_b32_e32 v14, v12
	s_branch .LBB0_14
.LBB0_13:                               ;   in Loop: Header=BB0_14 Depth=3
	s_or_b64 exec, exec, s[4:5]
	v_lshrrev_b32_e32 v1, 1, v14
	v_cmp_gt_u32_e32 vcc, 2, v14
	s_or_b64 s[16:17], vcc, s[16:17]
	v_mov_b32_e32 v14, v1
	s_andn2_b64 exec, exec, s[16:17]
	s_cbranch_execz .LBB0_24
.LBB0_14:                               ;   Parent Loop BB0_3 Depth=1
                                        ;     Parent Loop BB0_9 Depth=2
                                        ; =>    This Inner Loop Header: Depth=3
	v_and_b32_e32 v1, 1, v14
	v_cmp_eq_u32_e32 vcc, 1, v1
	s_and_saveexec_b64 s[18:19], vcc
	s_cbranch_execz .LBB0_20
; %bb.15:                               ;   in Loop: Header=BB0_14 Depth=3
	v_mul_lo_u32 v1, v5, v2
	v_mul_lo_u32 v3, v4, v3
	v_mad_u64_u32 v[6:7], s[4:5], v4, v2, 0
	v_add3_u32 v1, v7, v3, v1
	v_cmp_ne_u64_e32 vcc, 0, v[0:1]
                                        ; implicit-def: $vgpr2_vgpr3
	s_and_saveexec_b64 s[4:5], vcc
	s_xor_b64 s[20:21], exec, s[4:5]
	s_cbranch_execz .LBB0_17
; %bb.16:                               ;   in Loop: Header=BB0_14 Depth=3
	v_cvt_f32_u32_e32 v2, v8
	v_sub_co_u32_e32 v18, vcc, 0, v8
	v_subb_co_u32_e64 v19, s[4:5], 0, 0, vcc
	v_mac_f32_e32 v2, 0, v11
	v_rcp_f32_e32 v2, v2
	v_mul_f32_e32 v2, 0x5f7ffffc, v2
	v_mul_f32_e32 v3, 0x2f800000, v2
	v_trunc_f32_e32 v3, v3
	v_mac_f32_e32 v2, 0xcf800000, v3
	v_cvt_u32_f32_e32 v7, v3
	v_cvt_u32_f32_e32 v17, v2
	v_mul_lo_u32 v15, v18, v7
	v_mul_lo_u32 v16, v19, v17
	v_mad_u64_u32 v[2:3], s[4:5], v18, v17, 0
	v_add3_u32 v20, v3, v15, v16
	v_mul_hi_u32 v21, v17, v2
	v_mad_u64_u32 v[15:16], s[4:5], v17, v20, 0
	v_mad_u64_u32 v[2:3], s[4:5], v7, v2, 0
	v_add_co_u32_e32 v21, vcc, v21, v15
	v_addc_co_u32_e32 v22, vcc, 0, v16, vcc
	v_mad_u64_u32 v[15:16], s[4:5], v7, v20, 0
	v_add_co_u32_e32 v2, vcc, v21, v2
	v_addc_co_u32_e32 v2, vcc, v22, v3, vcc
	v_addc_co_u32_e32 v3, vcc, 0, v16, vcc
	v_add_co_u32_e32 v2, vcc, v2, v15
	v_addc_co_u32_e32 v3, vcc, 0, v3, vcc
	v_add_co_u32_e32 v20, vcc, v17, v2
	v_addc_co_u32_e32 v7, vcc, v7, v3, vcc
	v_mul_lo_u32 v15, v18, v7
	v_mul_lo_u32 v16, v19, v20
	v_mad_u64_u32 v[2:3], s[4:5], v18, v20, 0
	v_add3_u32 v3, v3, v15, v16
	v_mad_u64_u32 v[17:18], s[4:5], v20, v3, 0
	v_mul_hi_u32 v19, v20, v2
	v_mad_u64_u32 v[15:16], s[4:5], v7, v3, 0
	v_mad_u64_u32 v[2:3], s[4:5], v7, v2, 0
	v_add_co_u32_e32 v17, vcc, v19, v17
	v_addc_co_u32_e32 v18, vcc, 0, v18, vcc
	v_add_co_u32_e32 v2, vcc, v17, v2
	v_addc_co_u32_e32 v2, vcc, v18, v3, vcc
	v_addc_co_u32_e32 v3, vcc, 0, v16, vcc
	v_add_co_u32_e32 v2, vcc, v2, v15
	v_addc_co_u32_e32 v3, vcc, 0, v3, vcc
	v_add_co_u32_e32 v15, vcc, v20, v2
	v_addc_co_u32_e32 v7, vcc, v7, v3, vcc
	v_mad_u64_u32 v[2:3], s[4:5], v6, v7, 0
	v_mul_hi_u32 v16, v6, v15
	v_add_co_u32_e32 v17, vcc, v16, v2
	v_addc_co_u32_e32 v18, vcc, 0, v3, vcc
	v_mad_u64_u32 v[2:3], s[4:5], v1, v15, 0
	v_mad_u64_u32 v[15:16], s[4:5], v1, v7, 0
	v_add_co_u32_e32 v2, vcc, v17, v2
	v_addc_co_u32_e32 v2, vcc, v18, v3, vcc
	v_addc_co_u32_e32 v3, vcc, 0, v16, vcc
	v_add_co_u32_e32 v2, vcc, v2, v15
	v_addc_co_u32_e32 v7, vcc, 0, v3, vcc
	v_mad_u64_u32 v[2:3], s[4:5], v8, v2, 0
	v_mad_u64_u32 v[15:16], s[4:5], v8, v7, v[3:4]
	v_sub_co_u32_e32 v2, vcc, v6, v2
	v_subb_co_u32_e32 v1, vcc, v1, v15, vcc
	v_sub_co_u32_e32 v6, vcc, v2, v8
	v_subbrev_co_u32_e32 v3, vcc, 0, v1, vcc
	v_sub_co_u32_e32 v7, vcc, v6, v8
	v_subbrev_co_u32_e32 v15, vcc, 0, v3, vcc
	v_cmp_ge_u32_e32 vcc, v6, v8
	v_cndmask_b32_e64 v16, 0, -1, vcc
	v_cmp_eq_u32_e32 vcc, 0, v3
	v_cndmask_b32_e32 v16, -1, v16, vcc
	v_cmp_ne_u32_e32 vcc, 0, v16
	v_cmp_ge_u32_e64 s[4:5], v2, v8
	v_cndmask_b32_e32 v3, v3, v15, vcc
	v_cndmask_b32_e64 v15, 0, -1, s[4:5]
	v_cmp_eq_u32_e64 s[4:5], 0, v1
	v_cndmask_b32_e64 v15, -1, v15, s[4:5]
	v_cmp_ne_u32_e64 s[4:5], 0, v15
	v_cndmask_b32_e64 v3, v1, v3, s[4:5]
	v_cndmask_b32_e32 v1, v6, v7, vcc
	v_cndmask_b32_e64 v2, v2, v1, s[4:5]
                                        ; implicit-def: $vgpr6_vgpr7
.LBB0_17:                               ;   in Loop: Header=BB0_14 Depth=3
	s_andn2_saveexec_b64 s[4:5], s[20:21]
	s_cbranch_execz .LBB0_19
; %bb.18:                               ;   in Loop: Header=BB0_14 Depth=3
	v_cvt_f32_u32_e32 v1, v8
	v_sub_u32_e32 v2, 0, v8
	v_mov_b32_e32 v3, v0
	v_rcp_iflag_f32_e32 v1, v1
	v_mul_f32_e32 v1, 0x4f7ffffe, v1
	v_cvt_u32_f32_e32 v1, v1
	v_mul_lo_u32 v2, v2, v1
	v_mul_hi_u32 v2, v1, v2
	v_add_u32_e32 v1, v1, v2
	v_mul_hi_u32 v1, v6, v1
	v_mul_lo_u32 v1, v1, v8
	v_sub_u32_e32 v1, v6, v1
	v_sub_u32_e32 v2, v1, v8
	v_cmp_ge_u32_e32 vcc, v1, v8
	v_cndmask_b32_e32 v1, v1, v2, vcc
	v_sub_u32_e32 v2, v1, v8
	v_cmp_ge_u32_e32 vcc, v1, v8
	v_cndmask_b32_e32 v2, v1, v2, vcc
.LBB0_19:                               ;   in Loop: Header=BB0_14 Depth=3
	s_or_b64 exec, exec, s[4:5]
.LBB0_20:                               ;   in Loop: Header=BB0_14 Depth=3
	s_or_b64 exec, exec, s[18:19]
	v_mul_lo_u32 v1, v4, v5
	v_mad_u64_u32 v[6:7], s[4:5], v4, v4, 0
                                        ; implicit-def: $vgpr4_vgpr5
	v_add3_u32 v1, v7, v1, v1
	v_cmp_ne_u64_e32 vcc, 0, v[0:1]
	s_and_saveexec_b64 s[4:5], vcc
	s_xor_b64 s[18:19], exec, s[4:5]
	s_cbranch_execz .LBB0_22
; %bb.21:                               ;   in Loop: Header=BB0_14 Depth=3
	v_cvt_f32_u32_e32 v4, v8
	v_sub_co_u32_e32 v18, vcc, 0, v8
	v_subb_co_u32_e64 v19, s[4:5], 0, 0, vcc
	v_mac_f32_e32 v4, 0, v11
	v_rcp_f32_e32 v4, v4
	v_mul_f32_e32 v4, 0x5f7ffffc, v4
	v_mul_f32_e32 v5, 0x2f800000, v4
	v_trunc_f32_e32 v5, v5
	v_mac_f32_e32 v4, 0xcf800000, v5
	v_cvt_u32_f32_e32 v7, v5
	v_cvt_u32_f32_e32 v17, v4
	v_mul_lo_u32 v15, v18, v7
	v_mul_lo_u32 v16, v19, v17
	v_mad_u64_u32 v[4:5], s[4:5], v18, v17, 0
	v_add3_u32 v20, v5, v15, v16
	v_mul_hi_u32 v21, v17, v4
	v_mad_u64_u32 v[15:16], s[4:5], v17, v20, 0
	v_mad_u64_u32 v[4:5], s[4:5], v7, v4, 0
	v_add_co_u32_e32 v21, vcc, v21, v15
	v_addc_co_u32_e32 v22, vcc, 0, v16, vcc
	v_mad_u64_u32 v[15:16], s[4:5], v7, v20, 0
	v_add_co_u32_e32 v4, vcc, v21, v4
	v_addc_co_u32_e32 v4, vcc, v22, v5, vcc
	v_addc_co_u32_e32 v5, vcc, 0, v16, vcc
	v_add_co_u32_e32 v4, vcc, v4, v15
	v_addc_co_u32_e32 v5, vcc, 0, v5, vcc
	v_add_co_u32_e32 v20, vcc, v17, v4
	v_addc_co_u32_e32 v7, vcc, v7, v5, vcc
	v_mul_lo_u32 v15, v18, v7
	v_mul_lo_u32 v16, v19, v20
	v_mad_u64_u32 v[4:5], s[4:5], v18, v20, 0
	v_add3_u32 v5, v5, v15, v16
	v_mad_u64_u32 v[17:18], s[4:5], v20, v5, 0
	v_mul_hi_u32 v19, v20, v4
	v_mad_u64_u32 v[15:16], s[4:5], v7, v5, 0
	v_mad_u64_u32 v[4:5], s[4:5], v7, v4, 0
	v_add_co_u32_e32 v17, vcc, v19, v17
	v_addc_co_u32_e32 v18, vcc, 0, v18, vcc
	v_add_co_u32_e32 v4, vcc, v17, v4
	v_addc_co_u32_e32 v4, vcc, v18, v5, vcc
	v_addc_co_u32_e32 v5, vcc, 0, v16, vcc
	v_add_co_u32_e32 v4, vcc, v4, v15
	v_addc_co_u32_e32 v5, vcc, 0, v5, vcc
	v_add_co_u32_e32 v15, vcc, v20, v4
	v_addc_co_u32_e32 v7, vcc, v7, v5, vcc
	v_mad_u64_u32 v[4:5], s[4:5], v6, v7, 0
	v_mul_hi_u32 v16, v6, v15
	v_add_co_u32_e32 v17, vcc, v16, v4
	v_addc_co_u32_e32 v18, vcc, 0, v5, vcc
	v_mad_u64_u32 v[4:5], s[4:5], v1, v15, 0
	v_mad_u64_u32 v[15:16], s[4:5], v1, v7, 0
	v_add_co_u32_e32 v4, vcc, v17, v4
	v_addc_co_u32_e32 v4, vcc, v18, v5, vcc
	v_addc_co_u32_e32 v5, vcc, 0, v16, vcc
	v_add_co_u32_e32 v4, vcc, v4, v15
	v_addc_co_u32_e32 v7, vcc, 0, v5, vcc
	v_mad_u64_u32 v[4:5], s[4:5], v8, v4, 0
	v_mad_u64_u32 v[15:16], s[4:5], v8, v7, v[5:6]
	v_sub_co_u32_e32 v4, vcc, v6, v4
	v_subb_co_u32_e32 v1, vcc, v1, v15, vcc
	v_sub_co_u32_e32 v6, vcc, v4, v8
	v_subbrev_co_u32_e32 v5, vcc, 0, v1, vcc
	v_sub_co_u32_e32 v7, vcc, v6, v8
	v_subbrev_co_u32_e32 v15, vcc, 0, v5, vcc
	v_cmp_ge_u32_e32 vcc, v6, v8
	v_cndmask_b32_e64 v16, 0, -1, vcc
	v_cmp_eq_u32_e32 vcc, 0, v5
	v_cndmask_b32_e32 v16, -1, v16, vcc
	v_cmp_ne_u32_e32 vcc, 0, v16
	v_cmp_ge_u32_e64 s[4:5], v4, v8
	v_cndmask_b32_e32 v5, v5, v15, vcc
	v_cndmask_b32_e64 v15, 0, -1, s[4:5]
	v_cmp_eq_u32_e64 s[4:5], 0, v1
	v_cndmask_b32_e64 v15, -1, v15, s[4:5]
	v_cmp_ne_u32_e64 s[4:5], 0, v15
	v_cndmask_b32_e64 v5, v1, v5, s[4:5]
	v_cndmask_b32_e32 v1, v6, v7, vcc
	v_cndmask_b32_e64 v4, v4, v1, s[4:5]
                                        ; implicit-def: $vgpr6_vgpr7
.LBB0_22:                               ;   in Loop: Header=BB0_14 Depth=3
	s_andn2_saveexec_b64 s[4:5], s[18:19]
	s_cbranch_execz .LBB0_13
; %bb.23:                               ;   in Loop: Header=BB0_14 Depth=3
	v_cvt_f32_u32_e32 v1, v8
	v_sub_u32_e32 v4, 0, v8
	v_mov_b32_e32 v5, v0
	v_rcp_iflag_f32_e32 v1, v1
	v_mul_f32_e32 v1, 0x4f7ffffe, v1
	v_cvt_u32_f32_e32 v1, v1
	v_mul_lo_u32 v4, v4, v1
	v_mul_hi_u32 v4, v1, v4
	v_add_u32_e32 v1, v1, v4
	v_mul_hi_u32 v1, v6, v1
	v_mul_lo_u32 v1, v1, v8
	v_sub_u32_e32 v1, v6, v1
	v_sub_u32_e32 v4, v1, v8
	v_cmp_ge_u32_e32 vcc, v1, v8
	v_cndmask_b32_e32 v1, v1, v4, vcc
	v_sub_u32_e32 v4, v1, v8
	v_cmp_ge_u32_e32 vcc, v1, v8
	v_cndmask_b32_e32 v4, v1, v4, vcc
	s_branch .LBB0_13
.LBB0_24:                               ;   in Loop: Header=BB0_9 Depth=2
	s_or_b64 exec, exec, s[16:17]
	v_cmp_ne_u64_e32 vcc, 1, v[2:3]
	v_cmp_ne_u32_e64 s[4:5], v9, v2
	s_and_b64 s[4:5], vcc, s[4:5]
	v_mov_b32_e32 v6, 6
	s_and_saveexec_b64 s[16:17], s[4:5]
	s_cbranch_execz .LBB0_40
; %bb.25:                               ;   in Loop: Header=BB0_9 Depth=2
	s_mov_b64 s[4:5], -1
	v_mov_b32_e32 v6, 1
	v_mov_b32_e32 v1, 1
	s_and_saveexec_b64 s[18:19], s[2:3]
	s_cbranch_execz .LBB0_37
; %bb.26:                               ;   in Loop: Header=BB0_9 Depth=2
	s_mov_b32 s29, 1
	s_mov_b64 s[20:21], 0
                                        ; implicit-def: $sgpr22_sgpr23
	s_branch .LBB0_29
.LBB0_27:                               ;   in Loop: Header=BB0_29 Depth=3
	s_or_b64 exec, exec, s[26:27]
	s_xor_b64 s[26:27], exec, -1
	s_orn2_b64 s[24:25], s[24:25], exec
.LBB0_28:                               ;   in Loop: Header=BB0_29 Depth=3
	s_or_b64 exec, exec, s[4:5]
	s_xor_b64 s[4:5], s[26:27], -1
	s_and_b64 s[24:25], exec, s[24:25]
	s_or_b64 s[20:21], s[24:25], s[20:21]
	s_andn2_b64 s[22:23], s[22:23], exec
	s_and_b64 s[4:5], s[4:5], exec
	s_or_b64 s[22:23], s[22:23], s[4:5]
	s_andn2_b64 exec, exec, s[20:21]
	s_cbranch_execz .LBB0_36
.LBB0_29:                               ;   Parent Loop BB0_3 Depth=1
                                        ;     Parent Loop BB0_9 Depth=2
                                        ; =>    This Inner Loop Header: Depth=3
	v_mul_lo_u32 v1, v2, v3
	v_mad_u64_u32 v[4:5], s[4:5], v2, v2, 0
                                        ; implicit-def: $vgpr2_vgpr3
	v_add3_u32 v1, v5, v1, v1
	v_cmp_ne_u64_e32 vcc, 0, v[0:1]
	s_and_saveexec_b64 s[4:5], vcc
	s_xor_b64 s[24:25], exec, s[4:5]
	s_cbranch_execz .LBB0_31
; %bb.30:                               ;   in Loop: Header=BB0_29 Depth=3
	v_cvt_f32_u32_e32 v2, v8
	v_sub_co_u32_e32 v16, vcc, 0, v8
	v_subb_co_u32_e64 v17, s[4:5], 0, 0, vcc
	v_mac_f32_e32 v2, 0, v11
	v_rcp_f32_e32 v2, v2
	v_mul_f32_e32 v2, 0x5f7ffffc, v2
	v_mul_f32_e32 v3, 0x2f800000, v2
	v_trunc_f32_e32 v3, v3
	v_mac_f32_e32 v2, 0xcf800000, v3
	v_cvt_u32_f32_e32 v5, v3
	v_cvt_u32_f32_e32 v7, v2
	v_mul_lo_u32 v14, v16, v5
	v_mul_lo_u32 v15, v17, v7
	v_mad_u64_u32 v[2:3], s[4:5], v16, v7, 0
	v_add3_u32 v18, v3, v14, v15
	v_mul_hi_u32 v19, v7, v2
	v_mad_u64_u32 v[14:15], s[4:5], v7, v18, 0
	v_mad_u64_u32 v[2:3], s[4:5], v5, v2, 0
	v_add_co_u32_e32 v19, vcc, v19, v14
	v_addc_co_u32_e32 v20, vcc, 0, v15, vcc
	v_mad_u64_u32 v[14:15], s[4:5], v5, v18, 0
	v_add_co_u32_e32 v2, vcc, v19, v2
	v_addc_co_u32_e32 v2, vcc, v20, v3, vcc
	v_addc_co_u32_e32 v3, vcc, 0, v15, vcc
	v_add_co_u32_e32 v2, vcc, v2, v14
	v_addc_co_u32_e32 v3, vcc, 0, v3, vcc
	v_add_co_u32_e32 v7, vcc, v7, v2
	v_addc_co_u32_e32 v5, vcc, v5, v3, vcc
	v_mul_lo_u32 v14, v16, v5
	v_mul_lo_u32 v15, v17, v7
	v_mad_u64_u32 v[2:3], s[4:5], v16, v7, 0
	v_add3_u32 v3, v3, v14, v15
	v_mad_u64_u32 v[16:17], s[4:5], v7, v3, 0
	v_mul_hi_u32 v18, v7, v2
	v_mad_u64_u32 v[14:15], s[4:5], v5, v3, 0
	v_mad_u64_u32 v[2:3], s[4:5], v5, v2, 0
	v_add_co_u32_e32 v16, vcc, v18, v16
	v_addc_co_u32_e32 v17, vcc, 0, v17, vcc
	v_add_co_u32_e32 v2, vcc, v16, v2
	v_addc_co_u32_e32 v2, vcc, v17, v3, vcc
	v_addc_co_u32_e32 v3, vcc, 0, v15, vcc
	v_add_co_u32_e32 v2, vcc, v2, v14
	v_addc_co_u32_e32 v3, vcc, 0, v3, vcc
	v_add_co_u32_e32 v7, vcc, v7, v2
	v_addc_co_u32_e32 v5, vcc, v5, v3, vcc
	v_mad_u64_u32 v[2:3], s[4:5], v4, v5, 0
	v_mul_hi_u32 v14, v4, v7
	v_add_co_u32_e32 v16, vcc, v14, v2
	v_addc_co_u32_e32 v17, vcc, 0, v3, vcc
	v_mad_u64_u32 v[2:3], s[4:5], v1, v7, 0
	v_mad_u64_u32 v[14:15], s[4:5], v1, v5, 0
	v_add_co_u32_e32 v2, vcc, v16, v2
	v_addc_co_u32_e32 v2, vcc, v17, v3, vcc
	v_addc_co_u32_e32 v3, vcc, 0, v15, vcc
	v_add_co_u32_e32 v2, vcc, v2, v14
	v_addc_co_u32_e32 v5, vcc, 0, v3, vcc
	v_mad_u64_u32 v[2:3], s[4:5], v8, v2, 0
	v_mad_u64_u32 v[14:15], s[4:5], v8, v5, v[3:4]
	v_sub_co_u32_e32 v2, vcc, v4, v2
	v_subb_co_u32_e32 v1, vcc, v1, v14, vcc
	v_sub_co_u32_e32 v4, vcc, v2, v8
	v_subbrev_co_u32_e32 v3, vcc, 0, v1, vcc
	v_sub_co_u32_e32 v5, vcc, v4, v8
	v_subbrev_co_u32_e32 v7, vcc, 0, v3, vcc
	v_cmp_ge_u32_e32 vcc, v4, v8
	v_cndmask_b32_e64 v14, 0, -1, vcc
	v_cmp_eq_u32_e32 vcc, 0, v3
	v_cndmask_b32_e32 v14, -1, v14, vcc
	v_cmp_ne_u32_e32 vcc, 0, v14
	v_cmp_ge_u32_e64 s[4:5], v2, v8
	v_cndmask_b32_e32 v3, v3, v7, vcc
	v_cndmask_b32_e64 v7, 0, -1, s[4:5]
	v_cmp_eq_u32_e64 s[4:5], 0, v1
	v_cndmask_b32_e64 v7, -1, v7, s[4:5]
	v_cmp_ne_u32_e64 s[4:5], 0, v7
	v_cndmask_b32_e64 v3, v1, v3, s[4:5]
	v_cndmask_b32_e32 v1, v4, v5, vcc
	v_cndmask_b32_e64 v2, v2, v1, s[4:5]
                                        ; implicit-def: $vgpr4_vgpr5
.LBB0_31:                               ;   in Loop: Header=BB0_29 Depth=3
	s_andn2_saveexec_b64 s[4:5], s[24:25]
	s_cbranch_execz .LBB0_33
; %bb.32:                               ;   in Loop: Header=BB0_29 Depth=3
	v_cvt_f32_u32_e32 v1, v8
	v_sub_u32_e32 v2, 0, v8
	v_mov_b32_e32 v3, v0
	v_rcp_iflag_f32_e32 v1, v1
	v_mul_f32_e32 v1, 0x4f7ffffe, v1
	v_cvt_u32_f32_e32 v1, v1
	v_mul_lo_u32 v2, v2, v1
	v_mul_hi_u32 v2, v1, v2
	v_add_u32_e32 v1, v1, v2
	v_mul_hi_u32 v1, v4, v1
	v_mul_lo_u32 v1, v1, v8
	v_sub_u32_e32 v1, v4, v1
	v_sub_u32_e32 v2, v1, v8
	v_cmp_ge_u32_e32 vcc, v1, v8
	v_cndmask_b32_e32 v1, v1, v2, vcc
	v_sub_u32_e32 v2, v1, v8
	v_cmp_ge_u32_e32 vcc, v1, v8
	v_cndmask_b32_e32 v2, v1, v2, vcc
.LBB0_33:                               ;   in Loop: Header=BB0_29 Depth=3
	s_or_b64 exec, exec, s[4:5]
	v_cmp_ne_u64_e32 vcc, 1, v[2:3]
	s_mov_b64 s[24:25], -1
	s_mov_b64 s[26:27], -1
                                        ; implicit-def: $vgpr1
	s_and_saveexec_b64 s[4:5], vcc
	s_cbranch_execz .LBB0_28
; %bb.34:                               ;   in Loop: Header=BB0_29 Depth=3
	v_cmp_ne_u32_e32 vcc, v9, v2
	v_mov_b32_e32 v1, s29
	s_and_saveexec_b64 s[26:27], vcc
	s_cbranch_execz .LBB0_27
; %bb.35:                               ;   in Loop: Header=BB0_29 Depth=3
	s_add_i32 s29, s29, 1
	v_cmp_eq_u32_e32 vcc, s29, v13
	s_orn2_b64 s[24:25], vcc, exec
	v_mov_b32_e32 v1, v13
	s_branch .LBB0_27
.LBB0_36:                               ;   in Loop: Header=BB0_9 Depth=2
	s_or_b64 exec, exec, s[20:21]
	s_orn2_b64 s[4:5], s[22:23], exec
.LBB0_37:                               ;   in Loop: Header=BB0_9 Depth=2
	s_or_b64 exec, exec, s[18:19]
	s_and_saveexec_b64 s[18:19], s[4:5]
; %bb.38:                               ;   in Loop: Header=BB0_9 Depth=2
	v_cmp_eq_u32_e32 vcc, v1, v13
	v_cndmask_b32_e64 v6, 0, 1, vcc
; %bb.39:                               ;   in Loop: Header=BB0_9 Depth=2
	s_or_b64 exec, exec, s[18:19]
.LBB0_40:                               ;   in Loop: Header=BB0_9 Depth=2
	s_or_b64 exec, exec, s[16:17]
.LBB0_41:                               ;   in Loop: Header=BB0_9 Depth=2
	s_or_b64 exec, exec, s[14:15]
	v_cmp_gt_i32_e32 vcc, 6, v6
	s_mov_b64 s[4:5], -1
	s_mov_b64 s[14:15], -1
	s_and_saveexec_b64 s[16:17], vcc
; %bb.42:                               ;   in Loop: Header=BB0_9 Depth=2
	v_cmp_eq_u32_e32 vcc, 0, v6
	s_orn2_b64 s[14:15], vcc, exec
; %bb.43:                               ;   in Loop: Header=BB0_9 Depth=2
	s_or_b64 exec, exec, s[16:17]
	v_mov_b32_e32 v1, 0
	s_and_saveexec_b64 s[16:17], s[14:15]
	s_cbranch_execz .LBB0_8
; %bb.44:                               ;   in Loop: Header=BB0_9 Depth=2
	s_add_i32 s10, s10, 1
	s_cmp_eq_u32 s10, s28
	s_cselect_b64 s[4:5], -1, 0
	v_mov_b32_e32 v1, 1
	s_orn2_b64 s[4:5], s[4:5], exec
	s_branch .LBB0_8
.LBB0_45:                               ;   in Loop: Header=BB0_3 Depth=1
	s_or_b64 exec, exec, s[12:13]
	s_mov_b64 s[2:3], exec
	s_mov_b32 s4, 0
.LBB0_46:                               ;   Parent Loop BB0_3 Depth=1
                                        ; =>  This Inner Loop Header: Depth=2
	s_ff1_i32_b64 s5, s[2:3]
	v_readlane_b32 s10, v1, s5
	s_lshl_b64 s[12:13], 1, s5
	s_add_i32 s4, s4, s10
	s_andn2_b64 s[2:3], s[2:3], s[12:13]
	s_cmp_lg_u64 s[2:3], 0
	s_cbranch_scc1 .LBB0_46
; %bb.47:                               ;   in Loop: Header=BB0_3 Depth=1
	v_mbcnt_lo_u32_b32 v1, exec_lo, 0
	v_mbcnt_hi_u32_b32 v1, exec_hi, v1
	v_cmp_eq_u32_e32 vcc, 0, v1
	s_and_saveexec_b64 s[2:3], vcc
	s_xor_b64 s[2:3], exec, s[2:3]
	s_cbranch_execz .LBB0_2
; %bb.48:                               ;   in Loop: Header=BB0_3 Depth=1
	v_mov_b32_e32 v1, s4
	global_atomic_add v0, v1, s[6:7]
	s_branch .LBB0_2
.LBB0_49:
	s_endpgm
	.section	.rodata,"a",@progbits
	.p2align	6, 0x0
	.amdhsa_kernel _Z7mr32_sfPKjS0_Pii
		.amdhsa_group_segment_fixed_size 0
		.amdhsa_private_segment_fixed_size 0
		.amdhsa_kernarg_size 288
		.amdhsa_user_sgpr_count 6
		.amdhsa_user_sgpr_private_segment_buffer 1
		.amdhsa_user_sgpr_dispatch_ptr 0
		.amdhsa_user_sgpr_queue_ptr 0
		.amdhsa_user_sgpr_kernarg_segment_ptr 1
		.amdhsa_user_sgpr_dispatch_id 0
		.amdhsa_user_sgpr_flat_scratch_init 0
		.amdhsa_user_sgpr_private_segment_size 0
		.amdhsa_uses_dynamic_stack 0
		.amdhsa_system_sgpr_private_segment_wavefront_offset 0
		.amdhsa_system_sgpr_workgroup_id_x 1
		.amdhsa_system_sgpr_workgroup_id_y 0
		.amdhsa_system_sgpr_workgroup_id_z 0
		.amdhsa_system_sgpr_workgroup_info 0
		.amdhsa_system_vgpr_workitem_id 0
		.amdhsa_next_free_vgpr 23
		.amdhsa_next_free_sgpr 30
		.amdhsa_reserve_vcc 1
		.amdhsa_reserve_flat_scratch 0
		.amdhsa_float_round_mode_32 0
		.amdhsa_float_round_mode_16_64 0
		.amdhsa_float_denorm_mode_32 3
		.amdhsa_float_denorm_mode_16_64 3
		.amdhsa_dx10_clamp 1
		.amdhsa_ieee_mode 1
		.amdhsa_fp16_overflow 0
		.amdhsa_exception_fp_ieee_invalid_op 0
		.amdhsa_exception_fp_denorm_src 0
		.amdhsa_exception_fp_ieee_div_zero 0
		.amdhsa_exception_fp_ieee_overflow 0
		.amdhsa_exception_fp_ieee_underflow 0
		.amdhsa_exception_fp_ieee_inexact 0
		.amdhsa_exception_int_div_zero 0
	.end_amdhsa_kernel
	.text
.Lfunc_end0:
	.size	_Z7mr32_sfPKjS0_Pii, .Lfunc_end0-_Z7mr32_sfPKjS0_Pii
                                        ; -- End function
	.set _Z7mr32_sfPKjS0_Pii.num_vgpr, 23
	.set _Z7mr32_sfPKjS0_Pii.num_agpr, 0
	.set _Z7mr32_sfPKjS0_Pii.numbered_sgpr, 30
	.set _Z7mr32_sfPKjS0_Pii.num_named_barrier, 0
	.set _Z7mr32_sfPKjS0_Pii.private_seg_size, 0
	.set _Z7mr32_sfPKjS0_Pii.uses_vcc, 1
	.set _Z7mr32_sfPKjS0_Pii.uses_flat_scratch, 0
	.set _Z7mr32_sfPKjS0_Pii.has_dyn_sized_stack, 0
	.set _Z7mr32_sfPKjS0_Pii.has_recursion, 0
	.set _Z7mr32_sfPKjS0_Pii.has_indirect_call, 0
	.section	.AMDGPU.csdata,"",@progbits
; Kernel info:
; codeLenInByte = 2644
; TotalNumSgprs: 34
; NumVgprs: 23
; ScratchSize: 0
; MemoryBound: 0
; FloatMode: 240
; IeeeMode: 1
; LDSByteSize: 0 bytes/workgroup (compile time only)
; SGPRBlocks: 4
; VGPRBlocks: 5
; NumSGPRsForWavesPerEU: 34
; NumVGPRsForWavesPerEU: 23
; Occupancy: 10
; WaveLimiterHint : 0
; COMPUTE_PGM_RSRC2:SCRATCH_EN: 0
; COMPUTE_PGM_RSRC2:USER_SGPR: 6
; COMPUTE_PGM_RSRC2:TRAP_HANDLER: 0
; COMPUTE_PGM_RSRC2:TGID_X_EN: 1
; COMPUTE_PGM_RSRC2:TGID_Y_EN: 0
; COMPUTE_PGM_RSRC2:TGID_Z_EN: 0
; COMPUTE_PGM_RSRC2:TIDIG_COMP_CNT: 0
	.text
	.protected	_Z8mr32_effPKjS0_Pii    ; -- Begin function _Z8mr32_effPKjS0_Pii
	.globl	_Z8mr32_effPKjS0_Pii
	.p2align	8
	.type	_Z8mr32_effPKjS0_Pii,@function
_Z8mr32_effPKjS0_Pii:                   ; @_Z8mr32_effPKjS0_Pii
; %bb.0:
	s_load_dword s0, s[4:5], 0x2c
	s_load_dword s1, s[4:5], 0x18
	s_waitcnt lgkmcnt(0)
	s_and_b32 s0, s0, 0xffff
	s_mul_i32 s6, s6, s0
	v_add_u32_e32 v0, s6, v0
	v_cmp_gt_i32_e32 vcc, s1, v0
	s_and_saveexec_b64 s[0:1], vcc
	s_cbranch_execz .LBB1_41
; %bb.1:
	s_load_dwordx4 s[12:15], s[4:5], 0x0
	s_load_dwordx2 s[10:11], s[4:5], 0x10
	v_ashrrev_i32_e32 v1, 31, v0
	v_lshlrev_b64 v[0:1], 2, v[0:1]
	s_getpc_b64 s[0:1]
	s_add_u32 s0, s0, __const._ZL17modular_inverse32j.mask@rel32@lo+4
	s_addc_u32 s1, s1, __const._ZL17modular_inverse32j.mask@rel32@hi+12
	s_waitcnt lgkmcnt(0)
	v_mov_b32_e32 v2, s15
	v_add_co_u32_e32 v0, vcc, s14, v0
	v_addc_co_u32_e32 v1, vcc, v2, v1, vcc
	global_load_dword v4, v[0:1], off
	v_mov_b32_e32 v3, 0x4f800000
	s_mov_b32 s33, 1
	s_mov_b32 s14, 0
	v_mov_b32_e32 v1, 0
	s_waitcnt vmcnt(0)
	v_bfe_u32 v0, v4, 1, 7
	global_load_ubyte v0, v0, s[0:1]
	v_cvt_f32_u32_e32 v2, v4
	v_cvt_f32_u32_e32 v9, v4
	v_sub_u32_e32 v6, 0, v4
	v_add_u32_e32 v5, -1, v4
	v_rcp_iflag_f32_e32 v2, v2
	v_mac_f32_e32 v9, 0, v3
	v_rcp_f32_e32 v3, v9
	v_sub_co_u32_e32 v7, vcc, 0, v4
	v_mul_f32_e32 v2, 0x4f7ffffe, v2
	v_cvt_u32_f32_e32 v2, v2
	v_subb_co_u32_e64 v8, s[2:3], 0, 0, vcc
	v_and_b32_e32 v10, 1, v5
	v_mul_lo_u32 v9, v6, v2
	v_cmp_eq_u32_e64 s[2:3], 0, v10
	v_mul_f32_e32 v10, 0x5f7ffffc, v3
	s_mov_b32 s0, 0x80000001
	v_mul_hi_u32 v3, v2, v9
	v_mul_f32_e32 v9, 0x2f800000, v10
	v_trunc_f32_e32 v11, v9
	v_mac_f32_e32 v10, 0xcf800000, v11
	v_add_u32_e32 v2, v2, v3
	v_lshrrev_b32_e32 v2, 1, v2
	v_mul_lo_u32 v12, v2, v4
	v_cvt_u32_f32_e32 v9, v10
	v_cvt_u32_f32_e32 v11, v11
	v_cmp_gt_u32_e64 s[0:1], s0, v4
	s_waitcnt vmcnt(0)
	v_mad_u64_u32 v[2:3], s[4:5], v4, v0, 2
	v_sub_u32_e32 v3, 0x80000000, v12
	v_sub_u32_e32 v10, v3, v4
	v_mul_lo_u32 v0, v2, v0
	v_cmp_ge_u32_e32 vcc, v3, v4
	v_cndmask_b32_e32 v10, v3, v10, vcc
	v_cmp_ge_u32_e32 vcc, v10, v4
	v_mad_u64_u32 v[2:3], s[4:5], v0, v4, 2
	v_sub_u32_e32 v3, v10, v4
	v_cndmask_b32_e32 v3, v10, v3, vcc
	v_mul_lo_u32 v10, v2, v0
	v_lshlrev_b32_e32 v0, 1, v3
	v_sub_u32_e32 v2, v0, v4
	v_min_u32_e32 v12, v0, v2
	s_branch .LBB1_3
.LBB1_2:                                ;   in Loop: Header=BB1_3 Depth=1
	s_or_b64 exec, exec, s[4:5]
	s_add_i32 s33, s33, 1
	s_cmp_lg_u32 s33, 4
	s_cbranch_scc0 .LBB1_41
.LBB1_3:                                ; =>This Loop Header: Depth=1
                                        ;     Child Loop BB1_7 Depth 2
                                        ;     Child Loop BB1_11 Depth 2
                                        ;       Child Loop BB1_17 Depth 3
                                        ;       Child Loop BB1_24 Depth 3
                                        ;     Child Loop BB1_38 Depth 2
	v_mov_b32_e32 v13, v6
	s_and_saveexec_b64 s[4:5], s[0:1]
; %bb.4:                                ;   in Loop: Header=BB1_3 Depth=1
	v_mov_b32_e32 v13, v12
; %bb.5:                                ;   in Loop: Header=BB1_3 Depth=1
	s_or_b64 exec, exec, s[4:5]
	v_mov_b32_e32 v15, 0
	v_mov_b32_e32 v14, v5
	s_and_saveexec_b64 s[4:5], s[2:3]
	s_cbranch_execz .LBB1_9
; %bb.6:                                ;   in Loop: Header=BB1_3 Depth=1
	s_mov_b32 s8, 0
	s_mov_b64 s[6:7], 0
	v_mov_b32_e32 v14, v5
.LBB1_7:                                ;   Parent Loop BB1_3 Depth=1
                                        ; =>  This Inner Loop Header: Depth=2
	v_mov_b32_e32 v0, v14
	v_lshrrev_b32_e32 v14, 1, v0
	v_and_b32_e32 v0, 2, v0
	s_add_i32 s8, s8, 1
	v_cmp_ne_u32_e32 vcc, 0, v0
	s_or_b64 s[6:7], vcc, s[6:7]
	v_mov_b32_e32 v15, s8
	s_andn2_b64 exec, exec, s[6:7]
	s_cbranch_execnz .LBB1_7
; %bb.8:                                ;   in Loop: Header=BB1_3 Depth=1
	s_or_b64 exec, exec, s[6:7]
.LBB1_9:                                ;   in Loop: Header=BB1_3 Depth=1
	s_or_b64 exec, exec, s[4:5]
	v_sub_u32_e32 v16, v4, v13
	v_cmp_lt_u32_e64 s[4:5], 1, v15
	s_mov_b32 s18, 0
	s_mov_b64 s[16:17], 0
	s_branch .LBB1_11
.LBB1_10:                               ;   in Loop: Header=BB1_11 Depth=2
	s_or_b64 exec, exec, s[20:21]
	s_and_b64 s[6:7], exec, s[6:7]
	s_or_b64 s[16:17], s[6:7], s[16:17]
	s_andn2_b64 exec, exec, s[16:17]
	s_cbranch_execz .LBB1_37
.LBB1_11:                               ;   Parent Loop BB1_3 Depth=1
                                        ; =>  This Loop Header: Depth=2
                                        ;       Child Loop BB1_17 Depth 3
                                        ;       Child Loop BB1_24 Depth 3
	s_mov_b32 s19, s14
	s_lshl_b64 s[6:7], s[18:19], 2
	s_add_u32 s6, s12, s6
	s_addc_u32 s7, s13, s7
	s_load_dword s15, s[6:7], 0x0
	s_waitcnt lgkmcnt(0)
	s_cmp_lg_u64 s[14:15], 0
	s_cbranch_scc0 .LBB1_27
; %bb.12:                               ;   in Loop: Header=BB1_11 Depth=2
	v_mad_u64_u32 v[2:3], s[6:7], v7, v9, 0
	v_mul_lo_u32 v0, v7, v11
	v_mul_lo_u32 v17, v8, v9
	v_add3_u32 v0, v3, v0, v17
	v_mul_hi_u32 v3, v9, v2
	v_mad_u64_u32 v[17:18], s[6:7], v9, v0, 0
	v_add_co_u32_e32 v19, vcc, v3, v17
	v_mad_u64_u32 v[2:3], s[6:7], v11, v2, 0
	v_addc_co_u32_e32 v20, vcc, 0, v18, vcc
	v_mad_u64_u32 v[17:18], s[6:7], v11, v0, 0
	v_add_co_u32_e32 v0, vcc, v19, v2
	v_addc_co_u32_e32 v0, vcc, v20, v3, vcc
	v_addc_co_u32_e32 v2, vcc, 0, v18, vcc
	v_add_co_u32_e32 v0, vcc, v0, v17
	v_addc_co_u32_e32 v2, vcc, 0, v2, vcc
	v_add_co_u32_e32 v0, vcc, v9, v0
	v_addc_co_u32_e32 v21, vcc, v11, v2, vcc
	v_mul_lo_u32 v17, v7, v21
	v_mul_lo_u32 v18, v8, v0
	v_mad_u64_u32 v[2:3], s[6:7], v7, v0, 0
	v_add3_u32 v3, v3, v17, v18
	v_mad_u64_u32 v[19:20], s[6:7], v0, v3, 0
	v_mul_hi_u32 v22, v0, v2
	v_mad_u64_u32 v[17:18], s[6:7], v21, v3, 0
	v_mad_u64_u32 v[2:3], s[6:7], v21, v2, 0
	v_add_co_u32_e32 v19, vcc, v22, v19
	v_addc_co_u32_e32 v20, vcc, 0, v20, vcc
	v_add_co_u32_e32 v2, vcc, v19, v2
	v_addc_co_u32_e32 v2, vcc, v20, v3, vcc
	v_addc_co_u32_e32 v3, vcc, 0, v18, vcc
	v_add_co_u32_e32 v2, vcc, v2, v17
	v_addc_co_u32_e32 v3, vcc, 0, v3, vcc
	v_add_co_u32_e32 v0, vcc, v0, v2
	v_addc_co_u32_e32 v17, vcc, v21, v3, vcc
	v_mad_u64_u32 v[2:3], s[6:7], 0, v17, 0
	v_mul_hi_u32 v18, 0, v0
	v_add_co_u32_e32 v19, vcc, v18, v2
	v_addc_co_u32_e32 v20, vcc, 0, v3, vcc
	v_mad_u64_u32 v[2:3], s[6:7], s15, v0, 0
	v_mad_u64_u32 v[17:18], s[6:7], s15, v17, 0
	v_add_co_u32_e32 v0, vcc, v19, v2
	v_addc_co_u32_e32 v0, vcc, v20, v3, vcc
	v_addc_co_u32_e32 v2, vcc, 0, v18, vcc
	v_add_co_u32_e32 v0, vcc, v0, v17
	v_addc_co_u32_e32 v17, vcc, 0, v2, vcc
	v_mad_u64_u32 v[2:3], s[6:7], v4, v0, 0
	v_mov_b32_e32 v0, v3
	v_mad_u64_u32 v[17:18], s[6:7], v4, v17, v[0:1]
	v_mov_b32_e32 v0, s15
	v_sub_co_u32_e32 v2, vcc, 0, v2
	v_subb_co_u32_e32 v0, vcc, v0, v17, vcc
	v_sub_co_u32_e32 v17, vcc, v2, v4
	v_subbrev_co_u32_e32 v3, vcc, 0, v0, vcc
	v_sub_co_u32_e32 v18, vcc, v17, v4
	v_subbrev_co_u32_e32 v19, vcc, 0, v3, vcc
	v_cmp_ge_u32_e32 vcc, v17, v4
	v_cndmask_b32_e64 v20, 0, -1, vcc
	v_cmp_eq_u32_e32 vcc, 0, v3
	v_cndmask_b32_e32 v20, -1, v20, vcc
	v_cmp_ne_u32_e32 vcc, 0, v20
	v_cmp_ge_u32_e64 s[6:7], v2, v4
	v_cndmask_b32_e32 v3, v3, v19, vcc
	v_cndmask_b32_e64 v19, 0, -1, s[6:7]
	v_cmp_eq_u32_e64 s[6:7], 0, v0
	v_cndmask_b32_e64 v19, -1, v19, s[6:7]
	v_cmp_ne_u32_e64 s[6:7], 0, v19
	v_cndmask_b32_e64 v3, v0, v3, s[6:7]
	v_cndmask_b32_e32 v0, v17, v18, vcc
	v_cndmask_b32_e64 v2, v2, v0, s[6:7]
	s_cbranch_execnz .LBB1_14
.LBB1_13:                               ;   in Loop: Header=BB1_11 Depth=2
	v_cvt_f32_u32_e32 v0, v4
	v_sub_u32_e32 v2, 0, v4
	v_rcp_iflag_f32_e32 v0, v0
	v_mul_f32_e32 v0, 0x4f7ffffe, v0
	v_cvt_u32_f32_e32 v0, v0
	v_mul_lo_u32 v2, v2, v0
	v_mul_hi_u32 v2, v0, v2
	v_add_u32_e32 v0, v0, v2
	v_mul_hi_u32 v0, 0, v0
	v_mul_lo_u32 v0, v0, v4
	v_sub_u32_e32 v0, 0, v0
	v_sub_u32_e32 v2, v0, v4
	v_cmp_ge_u32_e32 vcc, v0, v4
	v_cndmask_b32_e32 v0, v0, v2, vcc
	v_sub_u32_e32 v2, v0, v4
	v_cmp_ge_u32_e32 vcc, v0, v4
	v_cndmask_b32_e32 v0, v0, v2, vcc
	v_mov_b32_e32 v3, v1
	v_mov_b32_e32 v2, v0
.LBB1_14:                               ;   in Loop: Header=BB1_11 Depth=2
	v_cmp_ne_u64_e32 vcc, 0, v[2:3]
	v_mov_b32_e32 v17, 6
	s_and_saveexec_b64 s[20:21], vcc
	s_cbranch_execz .LBB1_33
; %bb.15:                               ;   in Loop: Header=BB1_11 Depth=2
	s_mov_b64 s[22:23], 0
	v_mov_b32_e32 v3, v13
	v_mov_b32_e32 v17, v14
	s_branch .LBB1_17
.LBB1_16:                               ;   in Loop: Header=BB1_17 Depth=3
	s_andn2_saveexec_b64 s[6:7], s[8:9]
	s_or_b64 exec, exec, s[6:7]
	v_mad_u64_u32 v[18:19], s[6:7], v2, v2, 0
	v_mov_b32_e32 v20, v1
	v_cmp_gt_u32_e32 vcc, 2, v17
	v_mul_lo_u32 v0, v10, v18
	v_mad_u64_u32 v[21:22], s[6:7], v0, v4, v[18:19]
	v_lshrrev_b32_e32 v18, 1, v17
	v_mov_b32_e32 v17, v18
	v_mov_b32_e32 v0, v22
	v_cmp_lt_u64_e64 s[6:7], v[0:1], v[19:20]
	v_cmp_le_u32_e64 s[8:9], v4, v22
	s_or_b64 s[6:7], s[6:7], s[8:9]
	v_cndmask_b32_e64 v0, 0, v4, s[6:7]
	v_sub_u32_e32 v2, v22, v0
	s_or_b64 s[22:23], vcc, s[22:23]
	s_andn2_b64 exec, exec, s[22:23]
	s_cbranch_execz .LBB1_19
.LBB1_17:                               ;   Parent Loop BB1_3 Depth=1
                                        ;     Parent Loop BB1_11 Depth=2
                                        ; =>    This Inner Loop Header: Depth=3
	v_and_b32_e32 v0, 1, v17
	v_cmp_eq_u32_e32 vcc, 1, v0
	s_and_saveexec_b64 s[6:7], vcc
	s_xor_b64 s[8:9], exec, s[6:7]
	s_cbranch_execz .LBB1_16
; %bb.18:                               ;   in Loop: Header=BB1_17 Depth=3
	v_mad_u64_u32 v[18:19], s[6:7], v2, v3, 0
	v_mul_lo_u32 v0, v10, v18
	v_mad_u64_u32 v[20:21], s[6:7], v0, v4, v[18:19]
	v_mov_b32_e32 v20, v1
	v_mov_b32_e32 v0, v21
	v_cmp_lt_u64_e32 vcc, v[0:1], v[19:20]
	v_cmp_le_u32_e64 s[6:7], v4, v21
	s_or_b64 vcc, vcc, s[6:7]
	v_cndmask_b32_e32 v0, 0, v4, vcc
	v_sub_u32_e32 v3, v21, v0
	s_branch .LBB1_16
.LBB1_19:                               ;   in Loop: Header=BB1_11 Depth=2
	s_or_b64 exec, exec, s[22:23]
	v_cmp_ne_u32_e32 vcc, v3, v13
	v_cmp_ne_u32_e64 s[6:7], v3, v16
	s_and_b64 s[6:7], vcc, s[6:7]
	v_mov_b32_e32 v17, 6
	s_and_saveexec_b64 s[8:9], s[6:7]
	s_cbranch_execz .LBB1_32
; %bb.20:                               ;   in Loop: Header=BB1_11 Depth=2
	s_mov_b64 s[6:7], -1
	v_mov_b32_e32 v17, 1
	v_mov_b32_e32 v0, 1
	s_and_saveexec_b64 s[22:23], s[4:5]
	s_cbranch_execz .LBB1_29
; %bb.21:                               ;   in Loop: Header=BB1_11 Depth=2
	s_mov_b32 s15, 1
	s_mov_b64 s[24:25], 0
                                        ; implicit-def: $sgpr26_sgpr27
                                        ; implicit-def: $sgpr30_sgpr31
                                        ; implicit-def: $sgpr28_sgpr29
	s_branch .LBB1_24
.LBB1_22:                               ;   in Loop: Header=BB1_24 Depth=3
	s_or_b64 exec, exec, s[36:37]
	s_andn2_b64 s[30:31], s[30:31], exec
	s_and_b64 s[34:35], s[34:35], exec
	s_andn2_b64 s[28:29], s[28:29], exec
	s_or_b64 s[30:31], s[30:31], s[34:35]
.LBB1_23:                               ;   in Loop: Header=BB1_24 Depth=3
	s_or_b64 exec, exec, s[6:7]
	s_xor_b64 s[6:7], s[28:29], -1
	s_and_b64 s[34:35], exec, s[30:31]
	s_or_b64 s[24:25], s[34:35], s[24:25]
	s_andn2_b64 s[26:27], s[26:27], exec
	s_and_b64 s[6:7], s[6:7], exec
	s_or_b64 s[26:27], s[26:27], s[6:7]
	s_andn2_b64 exec, exec, s[24:25]
	s_cbranch_execz .LBB1_28
.LBB1_24:                               ;   Parent Loop BB1_3 Depth=1
                                        ;     Parent Loop BB1_11 Depth=2
                                        ; =>    This Inner Loop Header: Depth=3
	v_mad_u64_u32 v[2:3], s[6:7], v3, v3, 0
	v_mov_b32_e32 v21, v1
	s_or_b64 s[28:29], s[28:29], exec
	v_mul_lo_u32 v0, v10, v2
	v_mov_b32_e32 v20, v3
	s_or_b64 s[30:31], s[30:31], exec
	v_mad_u64_u32 v[18:19], s[6:7], v0, v4, v[2:3]
	v_mov_b32_e32 v0, v19
	v_cmp_lt_u64_e32 vcc, v[0:1], v[20:21]
	v_cmp_le_u32_e64 s[6:7], v4, v19
	s_or_b64 vcc, vcc, s[6:7]
	v_cndmask_b32_e32 v0, 0, v4, vcc
	v_sub_u32_e32 v3, v19, v0
	v_cmp_ne_u32_e32 vcc, v3, v13
                                        ; implicit-def: $vgpr0
	s_and_saveexec_b64 s[6:7], vcc
	s_cbranch_execz .LBB1_23
; %bb.25:                               ;   in Loop: Header=BB1_24 Depth=3
	v_cmp_ne_u32_e32 vcc, v3, v16
	s_mov_b64 s[34:35], -1
	v_mov_b32_e32 v0, s15
	s_and_saveexec_b64 s[36:37], vcc
	s_cbranch_execz .LBB1_22
; %bb.26:                               ;   in Loop: Header=BB1_24 Depth=3
	s_add_i32 s15, s15, 1
	v_cmp_eq_u32_e32 vcc, s15, v15
	s_orn2_b64 s[34:35], vcc, exec
	v_mov_b32_e32 v0, v15
	s_branch .LBB1_22
.LBB1_27:                               ;   in Loop: Header=BB1_11 Depth=2
                                        ; implicit-def: $vgpr2_vgpr3
	s_branch .LBB1_13
.LBB1_28:                               ;   in Loop: Header=BB1_11 Depth=2
	s_or_b64 exec, exec, s[24:25]
	s_orn2_b64 s[6:7], s[26:27], exec
.LBB1_29:                               ;   in Loop: Header=BB1_11 Depth=2
	s_or_b64 exec, exec, s[22:23]
	s_and_saveexec_b64 s[22:23], s[6:7]
; %bb.30:                               ;   in Loop: Header=BB1_11 Depth=2
	v_cmp_eq_u32_e32 vcc, v0, v15
	v_cndmask_b32_e64 v17, 0, 1, vcc
; %bb.31:                               ;   in Loop: Header=BB1_11 Depth=2
	s_or_b64 exec, exec, s[22:23]
.LBB1_32:                               ;   in Loop: Header=BB1_11 Depth=2
	s_or_b64 exec, exec, s[8:9]
.LBB1_33:                               ;   in Loop: Header=BB1_11 Depth=2
	s_or_b64 exec, exec, s[20:21]
	v_cmp_gt_i32_e32 vcc, 6, v17
	s_mov_b64 s[6:7], -1
	s_mov_b64 s[8:9], -1
	s_and_saveexec_b64 s[20:21], vcc
; %bb.34:                               ;   in Loop: Header=BB1_11 Depth=2
	v_cmp_eq_u32_e32 vcc, 0, v17
	s_orn2_b64 s[8:9], vcc, exec
; %bb.35:                               ;   in Loop: Header=BB1_11 Depth=2
	s_or_b64 exec, exec, s[20:21]
	v_mov_b32_e32 v0, 0
	s_and_saveexec_b64 s[20:21], s[8:9]
	s_cbranch_execz .LBB1_10
; %bb.36:                               ;   in Loop: Header=BB1_11 Depth=2
	s_add_i32 s18, s18, 1
	s_cmp_eq_u32 s18, s33
	s_cselect_b64 s[6:7], -1, 0
	v_mov_b32_e32 v0, 1
	s_orn2_b64 s[6:7], s[6:7], exec
	s_branch .LBB1_10
.LBB1_37:                               ;   in Loop: Header=BB1_3 Depth=1
	s_or_b64 exec, exec, s[16:17]
	s_mov_b64 s[4:5], exec
	s_mov_b32 s6, 0
.LBB1_38:                               ;   Parent Loop BB1_3 Depth=1
                                        ; =>  This Inner Loop Header: Depth=2
	s_ff1_i32_b64 s7, s[4:5]
	v_readlane_b32 s15, v0, s7
	s_lshl_b64 s[8:9], 1, s7
	s_add_i32 s6, s6, s15
	s_andn2_b64 s[4:5], s[4:5], s[8:9]
	s_cmp_lg_u64 s[4:5], 0
	s_cbranch_scc1 .LBB1_38
; %bb.39:                               ;   in Loop: Header=BB1_3 Depth=1
	v_mbcnt_lo_u32_b32 v0, exec_lo, 0
	v_mbcnt_hi_u32_b32 v0, exec_hi, v0
	v_cmp_eq_u32_e32 vcc, 0, v0
	s_and_saveexec_b64 s[4:5], vcc
	s_xor_b64 s[4:5], exec, s[4:5]
	s_cbranch_execz .LBB1_2
; %bb.40:                               ;   in Loop: Header=BB1_3 Depth=1
	v_mov_b32_e32 v0, s6
	global_atomic_add v1, v0, s[10:11]
	s_branch .LBB1_2
.LBB1_41:
	s_endpgm
	.section	.rodata,"a",@progbits
	.p2align	6, 0x0
	.amdhsa_kernel _Z8mr32_effPKjS0_Pii
		.amdhsa_group_segment_fixed_size 0
		.amdhsa_private_segment_fixed_size 0
		.amdhsa_kernarg_size 288
		.amdhsa_user_sgpr_count 6
		.amdhsa_user_sgpr_private_segment_buffer 1
		.amdhsa_user_sgpr_dispatch_ptr 0
		.amdhsa_user_sgpr_queue_ptr 0
		.amdhsa_user_sgpr_kernarg_segment_ptr 1
		.amdhsa_user_sgpr_dispatch_id 0
		.amdhsa_user_sgpr_flat_scratch_init 0
		.amdhsa_user_sgpr_private_segment_size 0
		.amdhsa_uses_dynamic_stack 0
		.amdhsa_system_sgpr_private_segment_wavefront_offset 0
		.amdhsa_system_sgpr_workgroup_id_x 1
		.amdhsa_system_sgpr_workgroup_id_y 0
		.amdhsa_system_sgpr_workgroup_id_z 0
		.amdhsa_system_sgpr_workgroup_info 0
		.amdhsa_system_vgpr_workitem_id 0
		.amdhsa_next_free_vgpr 23
		.amdhsa_next_free_sgpr 38
		.amdhsa_reserve_vcc 1
		.amdhsa_reserve_flat_scratch 0
		.amdhsa_float_round_mode_32 0
		.amdhsa_float_round_mode_16_64 0
		.amdhsa_float_denorm_mode_32 3
		.amdhsa_float_denorm_mode_16_64 3
		.amdhsa_dx10_clamp 1
		.amdhsa_ieee_mode 1
		.amdhsa_fp16_overflow 0
		.amdhsa_exception_fp_ieee_invalid_op 0
		.amdhsa_exception_fp_denorm_src 0
		.amdhsa_exception_fp_ieee_div_zero 0
		.amdhsa_exception_fp_ieee_overflow 0
		.amdhsa_exception_fp_ieee_underflow 0
		.amdhsa_exception_fp_ieee_inexact 0
		.amdhsa_exception_int_div_zero 0
	.end_amdhsa_kernel
	.text
.Lfunc_end1:
	.size	_Z8mr32_effPKjS0_Pii, .Lfunc_end1-_Z8mr32_effPKjS0_Pii
                                        ; -- End function
	.set _Z8mr32_effPKjS0_Pii.num_vgpr, 23
	.set _Z8mr32_effPKjS0_Pii.num_agpr, 0
	.set _Z8mr32_effPKjS0_Pii.numbered_sgpr, 38
	.set _Z8mr32_effPKjS0_Pii.num_named_barrier, 0
	.set _Z8mr32_effPKjS0_Pii.private_seg_size, 0
	.set _Z8mr32_effPKjS0_Pii.uses_vcc, 1
	.set _Z8mr32_effPKjS0_Pii.uses_flat_scratch, 0
	.set _Z8mr32_effPKjS0_Pii.has_dyn_sized_stack, 0
	.set _Z8mr32_effPKjS0_Pii.has_recursion, 0
	.set _Z8mr32_effPKjS0_Pii.has_indirect_call, 0
	.section	.AMDGPU.csdata,"",@progbits
; Kernel info:
; codeLenInByte = 1724
; TotalNumSgprs: 42
; NumVgprs: 23
; ScratchSize: 0
; MemoryBound: 0
; FloatMode: 240
; IeeeMode: 1
; LDSByteSize: 0 bytes/workgroup (compile time only)
; SGPRBlocks: 5
; VGPRBlocks: 5
; NumSGPRsForWavesPerEU: 42
; NumVGPRsForWavesPerEU: 23
; Occupancy: 10
; WaveLimiterHint : 0
; COMPUTE_PGM_RSRC2:SCRATCH_EN: 0
; COMPUTE_PGM_RSRC2:USER_SGPR: 6
; COMPUTE_PGM_RSRC2:TRAP_HANDLER: 0
; COMPUTE_PGM_RSRC2:TGID_X_EN: 1
; COMPUTE_PGM_RSRC2:TGID_Y_EN: 0
; COMPUTE_PGM_RSRC2:TGID_Z_EN: 0
; COMPUTE_PGM_RSRC2:TIDIG_COMP_CNT: 0
	.section	.AMDGPU.gpr_maximums,"",@progbits
	.set amdgpu.max_num_vgpr, 0
	.set amdgpu.max_num_agpr, 0
	.set amdgpu.max_num_sgpr, 0
	.section	.AMDGPU.csdata,"",@progbits
	.type	__const._ZL17modular_inverse32j.mask,@object ; @__const._ZL17modular_inverse32j.mask
	.section	.rodata,"a",@progbits
	.p2align	4, 0x0
__const._ZL17modular_inverse32j.mask:
	.ascii	"\377U3I\307];\021\017\345\303Y\327\355\313!\037uSi\347}[1/\005\343y\367\r\353A?\225s\211\007\235{QO%\003\231\027-\013a_\265\223\251'\275\233qoE#\2717M+\201\177\325\263\311G\335\273\221\217eC\331WmK\241\237\365\323\351g\375\333\261\257\205c\371w\215k\301\277\025\363\t\207\035\373\321\317\245\203\031\227\255\213\341\3375\023)\247=\033\361\357\305\2439\267\315\253\001"
	.size	__const._ZL17modular_inverse32j.mask, 128

	.type	__hip_cuid_7b4576e3c5f253e8,@object ; @__hip_cuid_7b4576e3c5f253e8
	.section	.bss,"aw",@nobits
	.globl	__hip_cuid_7b4576e3c5f253e8
__hip_cuid_7b4576e3c5f253e8:
	.byte	0                               ; 0x0
	.size	__hip_cuid_7b4576e3c5f253e8, 1

	.ident	"AMD clang version 22.0.0git (https://github.com/RadeonOpenCompute/llvm-project roc-7.2.4 26084 f58b06dce1f9c15707c5f808fd002e18c2accf7e)"
	.section	".note.GNU-stack","",@progbits
	.addrsig
	.addrsig_sym __hip_cuid_7b4576e3c5f253e8
	.amdgpu_metadata
---
amdhsa.kernels:
  - .args:
      - .actual_access:  read_only
        .address_space:  global
        .offset:         0
        .size:           8
        .value_kind:     global_buffer
      - .actual_access:  read_only
        .address_space:  global
        .offset:         8
        .size:           8
        .value_kind:     global_buffer
      - .address_space:  global
        .offset:         16
        .size:           8
        .value_kind:     global_buffer
      - .offset:         24
        .size:           4
        .value_kind:     by_value
      - .offset:         32
        .size:           4
        .value_kind:     hidden_block_count_x
      - .offset:         36
        .size:           4
        .value_kind:     hidden_block_count_y
      - .offset:         40
        .size:           4
        .value_kind:     hidden_block_count_z
      - .offset:         44
        .size:           2
        .value_kind:     hidden_group_size_x
      - .offset:         46
        .size:           2
        .value_kind:     hidden_group_size_y
      - .offset:         48
        .size:           2
        .value_kind:     hidden_group_size_z
      - .offset:         50
        .size:           2
        .value_kind:     hidden_remainder_x
      - .offset:         52
        .size:           2
        .value_kind:     hidden_remainder_y
      - .offset:         54
        .size:           2
        .value_kind:     hidden_remainder_z
      - .offset:         72
        .size:           8
        .value_kind:     hidden_global_offset_x
      - .offset:         80
        .size:           8
        .value_kind:     hidden_global_offset_y
      - .offset:         88
        .size:           8
        .value_kind:     hidden_global_offset_z
      - .offset:         96
        .size:           2
        .value_kind:     hidden_grid_dims
    .group_segment_fixed_size: 0
    .kernarg_segment_align: 8
    .kernarg_segment_size: 288
    .language:       OpenCL C
    .language_version:
      - 2
      - 0
    .max_flat_workgroup_size: 1024
    .name:           _Z7mr32_sfPKjS0_Pii
    .private_segment_fixed_size: 0
    .sgpr_count:     34
    .sgpr_spill_count: 0
    .symbol:         _Z7mr32_sfPKjS0_Pii.kd
    .uniform_work_group_size: 1
    .uses_dynamic_stack: false
    .vgpr_count:     23
    .vgpr_spill_count: 0
    .wavefront_size: 64
  - .args:
      - .actual_access:  read_only
        .address_space:  global
        .offset:         0
        .size:           8
        .value_kind:     global_buffer
      - .actual_access:  read_only
        .address_space:  global
        .offset:         8
        .size:           8
        .value_kind:     global_buffer
      - .address_space:  global
        .offset:         16
        .size:           8
        .value_kind:     global_buffer
      - .offset:         24
        .size:           4
        .value_kind:     by_value
      - .offset:         32
        .size:           4
        .value_kind:     hidden_block_count_x
      - .offset:         36
        .size:           4
        .value_kind:     hidden_block_count_y
      - .offset:         40
        .size:           4
        .value_kind:     hidden_block_count_z
      - .offset:         44
        .size:           2
        .value_kind:     hidden_group_size_x
      - .offset:         46
        .size:           2
        .value_kind:     hidden_group_size_y
      - .offset:         48
        .size:           2
        .value_kind:     hidden_group_size_z
      - .offset:         50
        .size:           2
        .value_kind:     hidden_remainder_x
      - .offset:         52
        .size:           2
        .value_kind:     hidden_remainder_y
      - .offset:         54
        .size:           2
        .value_kind:     hidden_remainder_z
      - .offset:         72
        .size:           8
        .value_kind:     hidden_global_offset_x
      - .offset:         80
        .size:           8
        .value_kind:     hidden_global_offset_y
      - .offset:         88
        .size:           8
        .value_kind:     hidden_global_offset_z
      - .offset:         96
        .size:           2
        .value_kind:     hidden_grid_dims
    .group_segment_fixed_size: 0
    .kernarg_segment_align: 8
    .kernarg_segment_size: 288
    .language:       OpenCL C
    .language_version:
      - 2
      - 0
    .max_flat_workgroup_size: 1024
    .name:           _Z8mr32_effPKjS0_Pii
    .private_segment_fixed_size: 0
    .sgpr_count:     42
    .sgpr_spill_count: 0
    .symbol:         _Z8mr32_effPKjS0_Pii.kd
    .uniform_work_group_size: 1
    .uses_dynamic_stack: false
    .vgpr_count:     23
    .vgpr_spill_count: 0
    .wavefront_size: 64
amdhsa.target:   amdgcn-amd-amdhsa--gfx906
amdhsa.version:
  - 1
  - 2
...

	.end_amdgpu_metadata
